;; amdgpu-corpus repo=ROCm/rocFFT kind=compiled arch=gfx1100 opt=O3
	.text
	.amdgcn_target "amdgcn-amd-amdhsa--gfx1100"
	.amdhsa_code_object_version 6
	.protected	fft_rtc_back_len50_factors_10_5_wgs_250_tpt_10_halfLds_half_ip_CI_unitstride_sbrr_R2C_dirReg ; -- Begin function fft_rtc_back_len50_factors_10_5_wgs_250_tpt_10_halfLds_half_ip_CI_unitstride_sbrr_R2C_dirReg
	.globl	fft_rtc_back_len50_factors_10_5_wgs_250_tpt_10_halfLds_half_ip_CI_unitstride_sbrr_R2C_dirReg
	.p2align	8
	.type	fft_rtc_back_len50_factors_10_5_wgs_250_tpt_10_halfLds_half_ip_CI_unitstride_sbrr_R2C_dirReg,@function
fft_rtc_back_len50_factors_10_5_wgs_250_tpt_10_halfLds_half_ip_CI_unitstride_sbrr_R2C_dirReg: ; @fft_rtc_back_len50_factors_10_5_wgs_250_tpt_10_halfLds_half_ip_CI_unitstride_sbrr_R2C_dirReg
; %bb.0:
	s_load_b128 s[4:7], s[0:1], 0x0
	v_mul_u32_u24_e32 v1, 0x199a, v0
	s_clause 0x1
	s_load_b64 s[8:9], s[0:1], 0x50
	s_load_b64 s[10:11], s[0:1], 0x18
	v_mov_b32_e32 v3, 0
	v_lshrrev_b32_e32 v4, 16, v1
	s_delay_alu instid0(VALU_DEP_1) | instskip(SKIP_3) | instid1(VALU_DEP_1)
	v_mad_u64_u32 v[1:2], null, s15, 25, v[4:5]
	v_mov_b32_e32 v5, 0
	v_mov_b32_e32 v6, 0
	;; [unrolled: 1-line block ×4, first 2 shown]
	s_waitcnt lgkmcnt(0)
	v_cmp_lt_u64_e64 s2, s[6:7], 2
	v_mov_b32_e32 v9, v1
	s_delay_alu instid0(VALU_DEP_2)
	s_and_b32 vcc_lo, exec_lo, s2
	s_cbranch_vccnz .LBB0_8
; %bb.1:
	s_load_b64 s[2:3], s[0:1], 0x10
	v_dual_mov_b32 v5, 0 :: v_dual_mov_b32 v8, v2
	s_add_u32 s12, s10, 8
	v_dual_mov_b32 v6, 0 :: v_dual_mov_b32 v7, v1
	s_addc_u32 s13, s11, 0
	s_mov_b64 s[16:17], 1
	s_waitcnt lgkmcnt(0)
	s_add_u32 s14, s2, 8
	s_addc_u32 s15, s3, 0
.LBB0_2:                                ; =>This Inner Loop Header: Depth=1
	s_load_b64 s[18:19], s[14:15], 0x0
                                        ; implicit-def: $vgpr9_vgpr10
	s_mov_b32 s2, exec_lo
	s_waitcnt lgkmcnt(0)
	v_or_b32_e32 v4, s19, v8
	s_delay_alu instid0(VALU_DEP_1)
	v_cmpx_ne_u64_e32 0, v[3:4]
	s_xor_b32 s3, exec_lo, s2
	s_cbranch_execz .LBB0_4
; %bb.3:                                ;   in Loop: Header=BB0_2 Depth=1
	v_cvt_f32_u32_e32 v2, s18
	v_cvt_f32_u32_e32 v4, s19
	s_sub_u32 s2, 0, s18
	s_subb_u32 s20, 0, s19
	s_delay_alu instid0(VALU_DEP_1) | instskip(NEXT) | instid1(VALU_DEP_1)
	v_fmac_f32_e32 v2, 0x4f800000, v4
	v_rcp_f32_e32 v2, v2
	s_waitcnt_depctr 0xfff
	v_mul_f32_e32 v2, 0x5f7ffffc, v2
	s_delay_alu instid0(VALU_DEP_1) | instskip(NEXT) | instid1(VALU_DEP_1)
	v_mul_f32_e32 v4, 0x2f800000, v2
	v_trunc_f32_e32 v4, v4
	s_delay_alu instid0(VALU_DEP_1) | instskip(SKIP_1) | instid1(VALU_DEP_2)
	v_fmac_f32_e32 v2, 0xcf800000, v4
	v_cvt_u32_f32_e32 v4, v4
	v_cvt_u32_f32_e32 v2, v2
	s_delay_alu instid0(VALU_DEP_2) | instskip(NEXT) | instid1(VALU_DEP_2)
	v_mul_lo_u32 v9, s2, v4
	v_mul_hi_u32 v10, s2, v2
	v_mul_lo_u32 v11, s20, v2
	s_delay_alu instid0(VALU_DEP_2) | instskip(SKIP_1) | instid1(VALU_DEP_2)
	v_add_nc_u32_e32 v9, v10, v9
	v_mul_lo_u32 v10, s2, v2
	v_add_nc_u32_e32 v9, v9, v11
	s_delay_alu instid0(VALU_DEP_2) | instskip(NEXT) | instid1(VALU_DEP_2)
	v_mul_hi_u32 v11, v2, v10
	v_mul_lo_u32 v12, v2, v9
	v_mul_hi_u32 v13, v2, v9
	v_mul_hi_u32 v14, v4, v10
	v_mul_lo_u32 v10, v4, v10
	v_mul_hi_u32 v15, v4, v9
	v_mul_lo_u32 v9, v4, v9
	v_add_co_u32 v11, vcc_lo, v11, v12
	v_add_co_ci_u32_e32 v12, vcc_lo, 0, v13, vcc_lo
	s_delay_alu instid0(VALU_DEP_2) | instskip(NEXT) | instid1(VALU_DEP_2)
	v_add_co_u32 v10, vcc_lo, v11, v10
	v_add_co_ci_u32_e32 v10, vcc_lo, v12, v14, vcc_lo
	v_add_co_ci_u32_e32 v11, vcc_lo, 0, v15, vcc_lo
	s_delay_alu instid0(VALU_DEP_2) | instskip(NEXT) | instid1(VALU_DEP_2)
	v_add_co_u32 v9, vcc_lo, v10, v9
	v_add_co_ci_u32_e32 v10, vcc_lo, 0, v11, vcc_lo
	s_delay_alu instid0(VALU_DEP_2) | instskip(NEXT) | instid1(VALU_DEP_2)
	v_add_co_u32 v2, vcc_lo, v2, v9
	v_add_co_ci_u32_e32 v4, vcc_lo, v4, v10, vcc_lo
	s_delay_alu instid0(VALU_DEP_2) | instskip(SKIP_1) | instid1(VALU_DEP_3)
	v_mul_hi_u32 v9, s2, v2
	v_mul_lo_u32 v11, s20, v2
	v_mul_lo_u32 v10, s2, v4
	s_delay_alu instid0(VALU_DEP_1) | instskip(SKIP_1) | instid1(VALU_DEP_2)
	v_add_nc_u32_e32 v9, v9, v10
	v_mul_lo_u32 v10, s2, v2
	v_add_nc_u32_e32 v9, v9, v11
	s_delay_alu instid0(VALU_DEP_2) | instskip(NEXT) | instid1(VALU_DEP_2)
	v_mul_hi_u32 v11, v2, v10
	v_mul_lo_u32 v12, v2, v9
	v_mul_hi_u32 v13, v2, v9
	v_mul_hi_u32 v14, v4, v10
	v_mul_lo_u32 v10, v4, v10
	v_mul_hi_u32 v15, v4, v9
	v_mul_lo_u32 v9, v4, v9
	v_add_co_u32 v11, vcc_lo, v11, v12
	v_add_co_ci_u32_e32 v12, vcc_lo, 0, v13, vcc_lo
	s_delay_alu instid0(VALU_DEP_2) | instskip(NEXT) | instid1(VALU_DEP_2)
	v_add_co_u32 v10, vcc_lo, v11, v10
	v_add_co_ci_u32_e32 v10, vcc_lo, v12, v14, vcc_lo
	v_add_co_ci_u32_e32 v11, vcc_lo, 0, v15, vcc_lo
	s_delay_alu instid0(VALU_DEP_2) | instskip(NEXT) | instid1(VALU_DEP_2)
	v_add_co_u32 v9, vcc_lo, v10, v9
	v_add_co_ci_u32_e32 v10, vcc_lo, 0, v11, vcc_lo
	s_delay_alu instid0(VALU_DEP_2) | instskip(NEXT) | instid1(VALU_DEP_2)
	v_add_co_u32 v2, vcc_lo, v2, v9
	v_add_co_ci_u32_e32 v4, vcc_lo, v4, v10, vcc_lo
	s_delay_alu instid0(VALU_DEP_2) | instskip(SKIP_1) | instid1(VALU_DEP_3)
	v_mul_hi_u32 v15, v7, v2
	v_mad_u64_u32 v[11:12], null, v8, v2, 0
	v_mad_u64_u32 v[9:10], null, v7, v4, 0
	;; [unrolled: 1-line block ×3, first 2 shown]
	s_delay_alu instid0(VALU_DEP_2) | instskip(NEXT) | instid1(VALU_DEP_3)
	v_add_co_u32 v2, vcc_lo, v15, v9
	v_add_co_ci_u32_e32 v4, vcc_lo, 0, v10, vcc_lo
	s_delay_alu instid0(VALU_DEP_2) | instskip(NEXT) | instid1(VALU_DEP_2)
	v_add_co_u32 v2, vcc_lo, v2, v11
	v_add_co_ci_u32_e32 v2, vcc_lo, v4, v12, vcc_lo
	v_add_co_ci_u32_e32 v4, vcc_lo, 0, v14, vcc_lo
	s_delay_alu instid0(VALU_DEP_2) | instskip(NEXT) | instid1(VALU_DEP_2)
	v_add_co_u32 v2, vcc_lo, v2, v13
	v_add_co_ci_u32_e32 v4, vcc_lo, 0, v4, vcc_lo
	s_delay_alu instid0(VALU_DEP_2) | instskip(SKIP_1) | instid1(VALU_DEP_3)
	v_mul_lo_u32 v11, s19, v2
	v_mad_u64_u32 v[9:10], null, s18, v2, 0
	v_mul_lo_u32 v12, s18, v4
	s_delay_alu instid0(VALU_DEP_2) | instskip(NEXT) | instid1(VALU_DEP_2)
	v_sub_co_u32 v9, vcc_lo, v7, v9
	v_add3_u32 v10, v10, v12, v11
	s_delay_alu instid0(VALU_DEP_1) | instskip(NEXT) | instid1(VALU_DEP_1)
	v_sub_nc_u32_e32 v11, v8, v10
	v_subrev_co_ci_u32_e64 v11, s2, s19, v11, vcc_lo
	v_add_co_u32 v12, s2, v2, 2
	s_delay_alu instid0(VALU_DEP_1) | instskip(SKIP_3) | instid1(VALU_DEP_3)
	v_add_co_ci_u32_e64 v13, s2, 0, v4, s2
	v_sub_co_u32 v14, s2, v9, s18
	v_sub_co_ci_u32_e32 v10, vcc_lo, v8, v10, vcc_lo
	v_subrev_co_ci_u32_e64 v11, s2, 0, v11, s2
	v_cmp_le_u32_e32 vcc_lo, s18, v14
	s_delay_alu instid0(VALU_DEP_3) | instskip(SKIP_1) | instid1(VALU_DEP_4)
	v_cmp_eq_u32_e64 s2, s19, v10
	v_cndmask_b32_e64 v14, 0, -1, vcc_lo
	v_cmp_le_u32_e32 vcc_lo, s19, v11
	v_cndmask_b32_e64 v15, 0, -1, vcc_lo
	v_cmp_le_u32_e32 vcc_lo, s18, v9
	;; [unrolled: 2-line block ×3, first 2 shown]
	v_cndmask_b32_e64 v16, 0, -1, vcc_lo
	v_cmp_eq_u32_e32 vcc_lo, s19, v11
	s_delay_alu instid0(VALU_DEP_2) | instskip(SKIP_3) | instid1(VALU_DEP_3)
	v_cndmask_b32_e64 v9, v16, v9, s2
	v_cndmask_b32_e32 v11, v15, v14, vcc_lo
	v_add_co_u32 v14, vcc_lo, v2, 1
	v_add_co_ci_u32_e32 v15, vcc_lo, 0, v4, vcc_lo
	v_cmp_ne_u32_e32 vcc_lo, 0, v11
	s_delay_alu instid0(VALU_DEP_2) | instskip(SKIP_1) | instid1(VALU_DEP_2)
	v_dual_cndmask_b32 v10, v15, v13 :: v_dual_cndmask_b32 v11, v14, v12
	v_cmp_ne_u32_e32 vcc_lo, 0, v9
	v_dual_cndmask_b32 v10, v4, v10 :: v_dual_cndmask_b32 v9, v2, v11
.LBB0_4:                                ;   in Loop: Header=BB0_2 Depth=1
	s_and_not1_saveexec_b32 s2, s3
	s_cbranch_execz .LBB0_6
; %bb.5:                                ;   in Loop: Header=BB0_2 Depth=1
	v_cvt_f32_u32_e32 v2, s18
	s_sub_i32 s3, 0, s18
	s_delay_alu instid0(VALU_DEP_1) | instskip(SKIP_2) | instid1(VALU_DEP_1)
	v_rcp_iflag_f32_e32 v2, v2
	s_waitcnt_depctr 0xfff
	v_mul_f32_e32 v2, 0x4f7ffffe, v2
	v_cvt_u32_f32_e32 v2, v2
	s_delay_alu instid0(VALU_DEP_1) | instskip(NEXT) | instid1(VALU_DEP_1)
	v_mul_lo_u32 v4, s3, v2
	v_mul_hi_u32 v4, v2, v4
	s_delay_alu instid0(VALU_DEP_1) | instskip(NEXT) | instid1(VALU_DEP_1)
	v_add_nc_u32_e32 v2, v2, v4
	v_mul_hi_u32 v2, v7, v2
	s_delay_alu instid0(VALU_DEP_1) | instskip(SKIP_1) | instid1(VALU_DEP_2)
	v_mul_lo_u32 v4, v2, s18
	v_add_nc_u32_e32 v9, 1, v2
	v_sub_nc_u32_e32 v4, v7, v4
	s_delay_alu instid0(VALU_DEP_1) | instskip(SKIP_1) | instid1(VALU_DEP_2)
	v_subrev_nc_u32_e32 v10, s18, v4
	v_cmp_le_u32_e32 vcc_lo, s18, v4
	v_cndmask_b32_e32 v4, v4, v10, vcc_lo
	v_mov_b32_e32 v10, v3
	v_cndmask_b32_e32 v2, v2, v9, vcc_lo
	s_delay_alu instid0(VALU_DEP_3) | instskip(NEXT) | instid1(VALU_DEP_2)
	v_cmp_le_u32_e32 vcc_lo, s18, v4
	v_add_nc_u32_e32 v9, 1, v2
	s_delay_alu instid0(VALU_DEP_1)
	v_cndmask_b32_e32 v9, v2, v9, vcc_lo
.LBB0_6:                                ;   in Loop: Header=BB0_2 Depth=1
	s_or_b32 exec_lo, exec_lo, s2
	s_load_b64 s[2:3], s[12:13], 0x0
	v_mul_lo_u32 v2, v10, s18
	s_delay_alu instid0(VALU_DEP_2)
	v_mul_lo_u32 v4, v9, s19
	v_mad_u64_u32 v[11:12], null, v9, s18, 0
	s_add_u32 s16, s16, 1
	s_addc_u32 s17, s17, 0
	s_add_u32 s12, s12, 8
	s_addc_u32 s13, s13, 0
	;; [unrolled: 2-line block ×3, first 2 shown]
	s_delay_alu instid0(VALU_DEP_1) | instskip(SKIP_1) | instid1(VALU_DEP_2)
	v_add3_u32 v2, v12, v4, v2
	v_sub_co_u32 v4, vcc_lo, v7, v11
	v_sub_co_ci_u32_e32 v2, vcc_lo, v8, v2, vcc_lo
	s_waitcnt lgkmcnt(0)
	s_delay_alu instid0(VALU_DEP_2) | instskip(NEXT) | instid1(VALU_DEP_2)
	v_mul_lo_u32 v11, s3, v4
	v_mul_lo_u32 v2, s2, v2
	v_mad_u64_u32 v[7:8], null, s2, v4, v[5:6]
	v_cmp_ge_u64_e64 s2, s[16:17], s[6:7]
	s_delay_alu instid0(VALU_DEP_1) | instskip(NEXT) | instid1(VALU_DEP_2)
	s_and_b32 vcc_lo, exec_lo, s2
	v_add3_u32 v6, v11, v8, v2
	s_delay_alu instid0(VALU_DEP_3)
	v_mov_b32_e32 v5, v7
	s_cbranch_vccnz .LBB0_8
; %bb.7:                                ;   in Loop: Header=BB0_2 Depth=1
	v_dual_mov_b32 v7, v9 :: v_dual_mov_b32 v8, v10
	s_branch .LBB0_2
.LBB0_8:
	s_lshl_b64 s[2:3], s[6:7], 3
	v_mul_hi_u32 v2, 0x51eb851f, v1
	s_add_u32 s2, s10, s2
	s_addc_u32 s3, s11, s3
	s_load_b64 s[0:1], s[0:1], 0x20
	s_load_b64 s[2:3], s[2:3], 0x0
	v_mul_hi_u32 v4, 0x1999999a, v0
	s_delay_alu instid0(VALU_DEP_2) | instskip(NEXT) | instid1(VALU_DEP_2)
	v_lshrrev_b32_e32 v2, 3, v2
	v_mul_u32_u24_e32 v4, 10, v4
	s_delay_alu instid0(VALU_DEP_2) | instskip(NEXT) | instid1(VALU_DEP_2)
	v_mul_lo_u32 v7, v2, 25
	v_sub_nc_u32_e32 v0, v0, v4
	s_delay_alu instid0(VALU_DEP_2)
	v_sub_nc_u32_e32 v1, v1, v7
	s_waitcnt lgkmcnt(0)
	v_cmp_gt_u64_e32 vcc_lo, s[0:1], v[9:10]
	v_mul_lo_u32 v8, s2, v10
	v_mul_lo_u32 v11, s3, v9
	v_mad_u64_u32 v[2:3], null, s2, v9, v[5:6]
	v_mul_u32_u24_e32 v1, 51, v1
	v_lshlrev_b32_e32 v4, 2, v0
	s_delay_alu instid0(VALU_DEP_2) | instskip(NEXT) | instid1(VALU_DEP_4)
	v_lshlrev_b32_e32 v15, 2, v1
	v_add3_u32 v3, v11, v3, v8
	s_delay_alu instid0(VALU_DEP_1)
	v_lshlrev_b64 v[2:3], 2, v[2:3]
	s_and_saveexec_b32 s1, vcc_lo
	s_cbranch_execz .LBB0_10
; %bb.9:
	v_mov_b32_e32 v1, 0
	s_delay_alu instid0(VALU_DEP_1) | instskip(NEXT) | instid1(VALU_DEP_3)
	v_lshlrev_b64 v[5:6], 2, v[0:1]
	v_add_co_u32 v1, s0, s8, v2
	s_delay_alu instid0(VALU_DEP_1) | instskip(NEXT) | instid1(VALU_DEP_2)
	v_add_co_ci_u32_e64 v7, s0, s9, v3, s0
	v_add_co_u32 v5, s0, v1, v5
	s_delay_alu instid0(VALU_DEP_1)
	v_add_co_ci_u32_e64 v6, s0, v7, v6, s0
	s_clause 0x4
	global_load_b32 v1, v[5:6], off
	global_load_b32 v7, v[5:6], off offset:40
	global_load_b32 v8, v[5:6], off offset:80
	;; [unrolled: 1-line block ×4, first 2 shown]
	v_add3_u32 v6, 0, v15, v4
	s_waitcnt vmcnt(3)
	ds_store_2addr_b32 v6, v1, v7 offset1:10
	s_waitcnt vmcnt(1)
	ds_store_2addr_b32 v6, v8, v9 offset0:20 offset1:30
	s_waitcnt vmcnt(0)
	ds_store_b32 v6, v5 offset:160
.LBB0_10:
	s_or_b32 exec_lo, exec_lo, s1
	v_add_nc_u32_e32 v16, 0, v4
	v_add_nc_u32_e32 v1, 0, v15
	s_waitcnt lgkmcnt(0)
	s_barrier
	buffer_gl0_inv
	v_add_nc_u32_e32 v14, v16, v15
	v_add_nc_u32_e32 v13, v1, v4
	v_cmp_gt_u32_e64 s0, 5, v0
	ds_load_2addr_b32 v[11:12], v14 offset0:5 offset1:10
	ds_load_2addr_b32 v[9:10], v14 offset0:15 offset1:20
	;; [unrolled: 1-line block ×4, first 2 shown]
	ds_load_b32 v17, v13
	ds_load_b32 v18, v14 offset:180
	s_waitcnt lgkmcnt(0)
	s_barrier
	buffer_gl0_inv
	s_and_saveexec_b32 s1, s0
	s_cbranch_execz .LBB0_12
; %bb.11:
	v_lshrrev_b32_e32 v19, 16, v10
	v_lshrrev_b32_e32 v20, 16, v8
	;; [unrolled: 1-line block ×4, first 2 shown]
	v_sub_f16_e32 v35, v18, v5
	v_sub_f16_e32 v42, v9, v7
	v_lshrrev_b32_e32 v23, 16, v17
	v_add_f16_e32 v24, v19, v20
	v_lshrrev_b32_e32 v25, 16, v7
	v_lshrrev_b32_e32 v26, 16, v5
	v_add_f16_e32 v35, v42, v35
	v_add_f16_e32 v42, v21, v22
	v_fma_f16 v24, -0.5, v24, v23
	v_lshrrev_b32_e32 v33, 16, v9
	v_lshrrev_b32_e32 v34, 16, v18
	v_sub_f16_e32 v44, v25, v26
	v_fmac_f16_e32 v23, -0.5, v42
	v_add_f16_e32 v42, v9, v18
	v_add_f16_e32 v30, v25, v26
	v_lshrrev_b32_e32 v31, 16, v11
	v_add_f16_e32 v46, v33, v34
	v_add_f16_e32 v32, v7, v5
	v_fma_f16 v42, -0.5, v42, v11
	v_sub_f16_e32 v37, v33, v34
	v_sub_f16_e32 v39, v34, v26
	;; [unrolled: 1-line block ×5, first 2 shown]
	v_fmamk_f16 v50, v44, 0xbb9c, v42
	v_fmac_f16_e32 v42, 0x3b9c, v44
	v_sub_f16_e32 v29, v12, v6
	v_fma_f16 v30, -0.5, v30, v31
	v_sub_f16_e32 v38, v33, v25
	v_sub_f16_e32 v41, v7, v5
	v_fmac_f16_e32 v31, -0.5, v46
	v_sub_f16_e32 v36, v9, v18
	v_fma_f16 v32, -0.5, v32, v11
	v_add_f16_e32 v34, v49, v34
	v_fmac_f16_e32 v50, 0x38b4, v37
	v_fmac_f16_e32 v42, 0xb8b4, v37
	v_sub_f16_e32 v27, v21, v19
	v_sub_f16_e32 v28, v22, v20
	v_add_f16_e32 v38, v38, v39
	v_fmamk_f16 v39, v29, 0xbb9c, v24
	v_sub_f16_e32 v45, v10, v8
	v_sub_f16_e32 v25, v25, v33
	v_fmamk_f16 v33, v41, 0x3b9c, v31
	v_fmac_f16_e32 v31, 0xbb9c, v41
	v_fmac_f16_e32 v24, 0x3b9c, v29
	v_fmamk_f16 v40, v36, 0xbb9c, v30
	v_fmamk_f16 v43, v37, 0x3b9c, v32
	v_fmac_f16_e32 v50, 0x34f2, v34
	v_fmac_f16_e32 v32, 0xbb9c, v37
	;; [unrolled: 1-line block ×4, first 2 shown]
	v_add_f16_e32 v34, v10, v8
	v_add_f16_e32 v27, v27, v28
	v_fmac_f16_e32 v39, 0xb8b4, v45
	v_fmac_f16_e32 v33, 0xb8b4, v36
	;; [unrolled: 1-line block ×4, first 2 shown]
	v_add_f16_e32 v36, v12, v6
	v_fmac_f16_e32 v40, 0xb8b4, v41
	v_sub_f16_e32 v47, v19, v21
	v_sub_f16_e32 v48, v20, v22
	v_fmamk_f16 v46, v45, 0x3b9c, v23
	v_fmac_f16_e32 v23, 0xbb9c, v45
	v_fmac_f16_e32 v32, 0xb8b4, v44
	;; [unrolled: 1-line block ×3, first 2 shown]
	v_fma_f16 v34, -0.5, v34, v17
	v_sub_f16_e32 v21, v21, v22
	v_fmac_f16_e32 v39, 0x34f2, v27
	v_add_f16_e32 v25, v25, v26
	v_fmac_f16_e32 v24, 0x34f2, v27
	v_sub_f16_e32 v27, v6, v8
	v_sub_f16_e32 v22, v12, v10
	v_pk_add_f16 v37, v17, v12
	v_sub_f16_e32 v19, v19, v20
	v_fmac_f16_e32 v17, -0.5, v36
	v_fmac_f16_e32 v43, 0x38b4, v44
	v_fmac_f16_e32 v40, 0x34f2, v38
	v_add_f16_e32 v26, v47, v48
	v_fmac_f16_e32 v46, 0xb8b4, v29
	v_fmac_f16_e32 v23, 0x38b4, v29
	;; [unrolled: 1-line block ×4, first 2 shown]
	v_fmamk_f16 v20, v21, 0x3b9c, v34
	v_fmac_f16_e32 v34, 0xbb9c, v21
	v_pk_add_f16 v9, v11, v9
	v_fmac_f16_e32 v33, 0x34f2, v25
	v_fmac_f16_e32 v31, 0x34f2, v25
	v_add_f16_e32 v22, v22, v27
	v_sub_f16_e32 v27, v8, v6
	v_sub_f16_e32 v12, v10, v12
	v_fmamk_f16 v36, v19, 0xbb9c, v17
	v_fmac_f16_e32 v17, 0x3b9c, v19
	v_fmac_f16_e32 v43, 0x34f2, v35
	v_mul_f16_e32 v28, 0xba79, v40
	v_fmac_f16_e32 v46, 0x34f2, v26
	v_fmac_f16_e32 v23, 0x34f2, v26
	v_mul_f16_e32 v26, 0x38b4, v32
	v_fmac_f16_e32 v20, 0x38b4, v19
	v_mul_f16_e32 v40, 0xb8b4, v40
	;; [unrolled: 2-line block ×3, first 2 shown]
	v_pk_add_f16 v10, v37, v10
	v_pk_add_f16 v7, v9, v7
	v_mul_f16_e32 v48, 0xb4f2, v33
	v_mul_f16_e32 v25, 0x34f2, v31
	v_add_f16_e32 v12, v12, v27
	v_fmac_f16_e32 v36, 0x38b4, v21
	v_mul_f16_e32 v27, 0xbb9c, v33
	v_fmac_f16_e32 v17, 0xb8b4, v21
	v_mul_f16_e32 v21, 0xbb9c, v31
	v_fmac_f16_e32 v26, 0x3a79, v30
	v_fmac_f16_e32 v20, 0x34f2, v22
	;; [unrolled: 1-line block ×5, first 2 shown]
	v_pk_add_f16 v8, v10, v8
	v_pk_add_f16 v5, v7, v5
	v_fmac_f16_e32 v28, 0x38b4, v43
	v_fmac_f16_e32 v48, 0x3b9c, v50
	;; [unrolled: 1-line block ×7, first 2 shown]
	v_sub_f16_e32 v11, v20, v40
	v_add_f16_e32 v7, v24, v26
	v_add_f16_e32 v10, v20, v40
	v_mul_u32_u24_e32 v20, 36, v0
	v_pk_add_f16 v6, v8, v6
	v_pk_add_f16 v5, v5, v18
	v_add_f16_e32 v8, v34, v19
	v_sub_f16_e32 v47, v39, v28
	v_sub_f16_e32 v35, v23, v25
	;; [unrolled: 1-line block ×3, first 2 shown]
	v_add_f16_e32 v9, v39, v28
	v_add_f16_e32 v28, v46, v48
	;; [unrolled: 1-line block ×5, first 2 shown]
	v_sub_f16_e32 v38, v24, v26
	v_sub_f16_e32 v30, v34, v19
	;; [unrolled: 1-line block ×4, first 2 shown]
	v_add3_u32 v15, v16, v20, v15
	v_pk_add_f16 v16, v6, v5
	v_pack_b32_f16 v7, v8, v7
	v_pack_b32_f16 v8, v18, v28
	;; [unrolled: 1-line block ×3, first 2 shown]
	v_pk_add_f16 v5, v6, v5 neg_lo:[0,1] neg_hi:[0,1]
	v_pack_b32_f16 v6, v10, v9
	v_pack_b32_f16 v9, v22, v35
	;; [unrolled: 1-line block ×5, first 2 shown]
	ds_store_2addr_b32 v15, v16, v7 offset1:1
	ds_store_2addr_b32 v15, v17, v8 offset0:2 offset1:3
	ds_store_2addr_b32 v15, v6, v5 offset0:4 offset1:5
	;; [unrolled: 1-line block ×4, first 2 shown]
.LBB0_12:
	s_or_b32 exec_lo, exec_lo, s1
	v_mov_b32_e32 v5, 0
	s_waitcnt lgkmcnt(0)
	s_barrier
	buffer_gl0_inv
	s_mov_b32 s2, exec_lo
	v_lshlrev_b64 v[6:7], 2, v[4:5]
	s_delay_alu instid0(VALU_DEP_1) | instskip(NEXT) | instid1(VALU_DEP_1)
	v_add_co_u32 v6, s1, s4, v6
	v_add_co_ci_u32_e64 v7, s1, s5, v7, s1
	global_load_b128 v[6:9], v[6:7], off
	ds_load_2addr_b32 v[10:11], v14 offset0:10 offset1:20
	ds_load_2addr_b32 v[15:16], v14 offset0:30 offset1:40
	ds_load_b32 v12, v13
	ds_load_u16 v17, v13 offset:2
	s_waitcnt vmcnt(0) lgkmcnt(0)
	s_barrier
	buffer_gl0_inv
	v_lshrrev_b32_e32 v18, 16, v10
	v_lshrrev_b32_e32 v19, 16, v11
	;; [unrolled: 1-line block ×8, first 2 shown]
	s_delay_alu instid0(VALU_DEP_4)
	v_mul_f16_e32 v26, v21, v18
	v_mul_f16_e32 v21, v21, v10
	;; [unrolled: 1-line block ×8, first 2 shown]
	v_fmac_f16_e32 v26, v6, v10
	v_fma_f16 v6, v6, v18, -v21
	v_fmac_f16_e32 v27, v7, v11
	v_fma_f16 v7, v7, v19, -v23
	;; [unrolled: 2-line block ×4, first 2 shown]
	v_add_f16_e32 v23, v17, v6
	v_add_f16_e32 v11, v27, v28
	v_add_f16_e32 v24, v7, v8
	v_add_f16_e32 v20, v26, v29
	v_add_f16_e32 v32, v6, v10
	v_add_f16_e32 v9, v26, v12
	v_sub_f16_e32 v15, v6, v10
	v_sub_f16_e32 v16, v7, v8
	;; [unrolled: 1-line block ×9, first 2 shown]
	v_fma_f16 v11, -0.5, v11, v12
	v_fmac_f16_e32 v12, -0.5, v20
	v_add_f16_e32 v7, v23, v7
	v_fma_f16 v20, -0.5, v24, v17
	v_sub_f16_e32 v26, v27, v28
	v_fmac_f16_e32 v17, -0.5, v32
	v_sub_f16_e32 v31, v10, v8
	v_sub_f16_e32 v33, v8, v10
	v_add_f16_e32 v9, v9, v27
	v_add_f16_e32 v18, v18, v19
	;; [unrolled: 1-line block ×3, first 2 shown]
	v_fmamk_f16 v22, v15, 0xbb9c, v11
	v_add_f16_e32 v7, v7, v8
	v_fmamk_f16 v8, v25, 0x3b9c, v20
	v_fmamk_f16 v23, v16, 0x3b9c, v12
	v_fmac_f16_e32 v12, 0xbb9c, v16
	v_fmamk_f16 v24, v26, 0xbb9c, v17
	v_fmac_f16_e32 v17, 0x3b9c, v26
	v_fmac_f16_e32 v11, 0x3b9c, v15
	;; [unrolled: 1-line block ×3, first 2 shown]
	v_add_f16_e32 v21, v30, v31
	v_add_f16_e32 v9, v9, v28
	v_fmac_f16_e32 v22, 0xb8b4, v16
	v_fmac_f16_e32 v8, 0x38b4, v26
	v_add_f16_e32 v6, v6, v33
	v_fmac_f16_e32 v23, 0xb8b4, v15
	v_fmac_f16_e32 v12, 0x38b4, v15
	;; [unrolled: 1-line block ×6, first 2 shown]
	v_add_f16_e32 v9, v9, v29
	v_add_f16_e32 v7, v7, v10
	v_fmac_f16_e32 v22, 0x34f2, v18
	v_fmac_f16_e32 v8, 0x34f2, v21
	v_fmac_f16_e32 v23, 0x34f2, v19
	v_fmac_f16_e32 v12, 0x34f2, v19
	v_fmac_f16_e32 v24, 0x34f2, v6
	v_fmac_f16_e32 v17, 0x34f2, v6
	v_fmac_f16_e32 v11, 0x34f2, v18
	v_fmac_f16_e32 v20, 0x34f2, v21
	v_pack_b32_f16 v6, v9, v7
	v_pack_b32_f16 v7, v22, v8
	;; [unrolled: 1-line block ×5, first 2 shown]
	ds_store_2addr_b32 v14, v6, v7 offset1:10
	ds_store_2addr_b32 v14, v8, v9 offset0:20 offset1:30
	ds_store_b32 v14, v10 offset:160
	s_waitcnt lgkmcnt(0)
	s_barrier
	buffer_gl0_inv
	ds_load_b32 v10, v13
	v_sub_nc_u32_e32 v8, v1, v4
                                        ; implicit-def: $vgpr12
                                        ; implicit-def: $vgpr9
                                        ; implicit-def: $vgpr11
                                        ; implicit-def: $vgpr6_vgpr7
	s_waitcnt lgkmcnt(0)
	v_lshrrev_b32_e32 v4, 16, v10
	v_cmpx_ne_u32_e32 0, v0
	s_xor_b32 s2, exec_lo, s2
	s_cbranch_execz .LBB0_14
; %bb.13:
	v_mov_b32_e32 v1, v5
	s_delay_alu instid0(VALU_DEP_1) | instskip(NEXT) | instid1(VALU_DEP_1)
	v_lshlrev_b64 v[5:6], 2, v[0:1]
	v_add_co_u32 v5, s1, s4, v5
	s_delay_alu instid0(VALU_DEP_1)
	v_add_co_ci_u32_e64 v6, s1, s5, v6, s1
	global_load_b32 v5, v[5:6], off offset:160
	ds_load_b32 v6, v8 offset:200
	s_waitcnt lgkmcnt(0)
	v_lshrrev_b32_e32 v7, 16, v6
	v_sub_f16_e32 v9, v10, v6
	v_add_f16_e32 v6, v6, v10
	s_delay_alu instid0(VALU_DEP_3) | instskip(SKIP_1) | instid1(VALU_DEP_4)
	v_add_f16_e32 v11, v7, v4
	v_sub_f16_e32 v4, v4, v7
	v_mul_f16_e32 v7, 0.5, v9
	s_delay_alu instid0(VALU_DEP_3) | instskip(NEXT) | instid1(VALU_DEP_3)
	v_mul_f16_e32 v10, 0.5, v11
	v_mul_f16_e32 v4, 0.5, v4
	s_waitcnt vmcnt(0)
	v_lshrrev_b32_e32 v9, 16, v5
	s_delay_alu instid0(VALU_DEP_1) | instskip(NEXT) | instid1(VALU_DEP_3)
	v_mul_f16_e32 v11, v9, v7
	v_fma_f16 v12, v10, v9, v4
	v_fma_f16 v4, v10, v9, -v4
	s_delay_alu instid0(VALU_DEP_3) | instskip(SKIP_1) | instid1(VALU_DEP_4)
	v_fma_f16 v14, 0.5, v6, v11
	v_fma_f16 v6, v6, 0.5, -v11
	v_fma_f16 v11, -v5, v7, v12
	s_delay_alu instid0(VALU_DEP_4) | instskip(NEXT) | instid1(VALU_DEP_4)
	v_fma_f16 v12, -v5, v7, v4
                                        ; implicit-def: $vgpr4
	v_fmac_f16_e32 v14, v5, v10
	s_delay_alu instid0(VALU_DEP_4)
	v_fma_f16 v9, -v5, v10, v6
	v_dual_mov_b32 v7, v1 :: v_dual_mov_b32 v6, v0
                                        ; implicit-def: $vgpr10
                                        ; implicit-def: $vgpr1
	ds_store_b16 v13, v14
.LBB0_14:
	s_and_not1_saveexec_b32 s1, s2
	s_cbranch_execz .LBB0_16
; %bb.15:
	ds_load_u16 v5, v1 offset:102
	v_dual_mov_b32 v6, 0 :: v_dual_mov_b32 v11, 0
	v_add_f16_e32 v14, v4, v10
	v_sub_f16_e32 v9, v10, v4
	v_dual_mov_b32 v7, 0 :: v_dual_mov_b32 v12, 0
	s_waitcnt lgkmcnt(0)
	v_xor_b32_e32 v4, 0x8000, v5
	ds_store_b16 v13, v14
	ds_store_b16 v1, v4 offset:102
.LBB0_16:
	s_or_b32 exec_lo, exec_lo, s1
	v_lshlrev_b64 v[4:5], 2, v[6:7]
	s_add_u32 s1, s4, 0xa0
	s_addc_u32 s2, s5, 0
	v_perm_b32 v9, v12, v9, 0x5040100
	s_delay_alu instid0(VALU_DEP_2) | instskip(NEXT) | instid1(VALU_DEP_1)
	v_add_co_u32 v6, s1, s1, v4
	v_add_co_ci_u32_e64 v7, s1, s2, v5, s1
	global_load_b32 v1, v[6:7], off offset:40
	ds_store_b16 v13, v11 offset:2
	ds_store_b32 v8, v9 offset:200
	ds_load_b32 v9, v13 offset:40
	ds_load_b32 v10, v8 offset:160
	s_waitcnt lgkmcnt(0)
	v_pk_add_f16 v11, v9, v10 neg_lo:[0,1] neg_hi:[0,1]
	v_pk_add_f16 v9, v9, v10
	s_delay_alu instid0(VALU_DEP_1) | instskip(SKIP_1) | instid1(VALU_DEP_2)
	v_bfi_b32 v10, 0xffff, v11, v9
	v_bfi_b32 v9, 0xffff, v9, v11
	v_pk_mul_f16 v10, v10, 0.5 op_sel_hi:[1,0]
	s_delay_alu instid0(VALU_DEP_2) | instskip(SKIP_1) | instid1(VALU_DEP_1)
	v_pk_mul_f16 v9, v9, 0.5 op_sel_hi:[1,0]
	s_waitcnt vmcnt(0)
	v_pk_fma_f16 v11, v1, v10, v9 op_sel:[1,0,0]
	v_pk_mul_f16 v12, v1, v10 op_sel_hi:[0,1]
	v_pk_fma_f16 v14, v1, v10, v9 op_sel:[1,0,0] neg_lo:[1,0,0] neg_hi:[1,0,0]
	v_pk_fma_f16 v1, v1, v10, v9 op_sel:[1,0,0] neg_lo:[0,0,1] neg_hi:[0,0,1]
	s_delay_alu instid0(VALU_DEP_3) | instskip(SKIP_1) | instid1(VALU_DEP_4)
	v_pk_add_f16 v9, v11, v12 op_sel:[0,1] op_sel_hi:[1,0]
	v_pk_add_f16 v10, v11, v12 op_sel:[0,1] op_sel_hi:[1,0] neg_lo:[0,1] neg_hi:[0,1]
	v_pk_add_f16 v11, v14, v12 op_sel:[0,1] op_sel_hi:[1,0] neg_lo:[0,1] neg_hi:[0,1]
	s_delay_alu instid0(VALU_DEP_4) | instskip(NEXT) | instid1(VALU_DEP_3)
	v_pk_add_f16 v1, v1, v12 op_sel:[0,1] op_sel_hi:[1,0] neg_lo:[0,1] neg_hi:[0,1]
	v_bfi_b32 v9, 0xffff, v9, v10
	s_delay_alu instid0(VALU_DEP_2)
	v_bfi_b32 v1, 0xffff, v11, v1
	ds_store_b32 v13, v9 offset:40
	ds_store_b32 v8, v1 offset:160
	s_and_saveexec_b32 s1, s0
	s_cbranch_execz .LBB0_18
; %bb.17:
	global_load_b32 v1, v[6:7], off offset:80
	ds_load_b32 v6, v13 offset:80
	ds_load_b32 v7, v8 offset:120
	s_waitcnt lgkmcnt(0)
	v_pk_add_f16 v9, v6, v7 neg_lo:[0,1] neg_hi:[0,1]
	v_pk_add_f16 v6, v6, v7
	s_delay_alu instid0(VALU_DEP_1) | instskip(SKIP_1) | instid1(VALU_DEP_2)
	v_bfi_b32 v7, 0xffff, v9, v6
	v_bfi_b32 v6, 0xffff, v6, v9
	v_pk_mul_f16 v7, v7, 0.5 op_sel_hi:[1,0]
	s_delay_alu instid0(VALU_DEP_2) | instskip(SKIP_1) | instid1(VALU_DEP_1)
	v_pk_mul_f16 v6, v6, 0.5 op_sel_hi:[1,0]
	s_waitcnt vmcnt(0)
	v_pk_fma_f16 v9, v1, v7, v6 op_sel:[1,0,0]
	v_pk_mul_f16 v10, v1, v7 op_sel_hi:[0,1]
	v_pk_fma_f16 v11, v1, v7, v6 op_sel:[1,0,0] neg_lo:[1,0,0] neg_hi:[1,0,0]
	v_pk_fma_f16 v1, v1, v7, v6 op_sel:[1,0,0] neg_lo:[0,0,1] neg_hi:[0,0,1]
	s_delay_alu instid0(VALU_DEP_3) | instskip(SKIP_1) | instid1(VALU_DEP_4)
	v_pk_add_f16 v6, v9, v10 op_sel:[0,1] op_sel_hi:[1,0]
	v_pk_add_f16 v7, v9, v10 op_sel:[0,1] op_sel_hi:[1,0] neg_lo:[0,1] neg_hi:[0,1]
	v_pk_add_f16 v9, v11, v10 op_sel:[0,1] op_sel_hi:[1,0] neg_lo:[0,1] neg_hi:[0,1]
	s_delay_alu instid0(VALU_DEP_4) | instskip(NEXT) | instid1(VALU_DEP_3)
	v_pk_add_f16 v1, v1, v10 op_sel:[0,1] op_sel_hi:[1,0] neg_lo:[0,1] neg_hi:[0,1]
	v_bfi_b32 v6, 0xffff, v6, v7
	s_delay_alu instid0(VALU_DEP_2)
	v_bfi_b32 v1, 0xffff, v9, v1
	ds_store_b32 v13, v6 offset:80
	ds_store_b32 v8, v1 offset:120
.LBB0_18:
	s_or_b32 exec_lo, exec_lo, s1
	s_waitcnt lgkmcnt(0)
	s_barrier
	buffer_gl0_inv
	s_and_saveexec_b32 s0, vcc_lo
	s_cbranch_execz .LBB0_21
; %bb.19:
	ds_load_2addr_b32 v[6:7], v13 offset1:10
	ds_load_2addr_b32 v[8:9], v13 offset0:20 offset1:30
	ds_load_b32 v10, v13 offset:160
	v_add_co_u32 v1, vcc_lo, s8, v2
	v_add_co_ci_u32_e32 v2, vcc_lo, s9, v3, vcc_lo
	s_delay_alu instid0(VALU_DEP_2) | instskip(NEXT) | instid1(VALU_DEP_2)
	v_add_co_u32 v3, vcc_lo, v1, v4
	v_add_co_ci_u32_e32 v4, vcc_lo, v2, v5, vcc_lo
	v_cmp_eq_u32_e32 vcc_lo, 9, v0
	s_waitcnt lgkmcnt(2)
	s_clause 0x1
	global_store_b32 v[3:4], v6, off
	global_store_b32 v[3:4], v7, off offset:40
	s_waitcnt lgkmcnt(1)
	s_clause 0x1
	global_store_b32 v[3:4], v8, off offset:80
	global_store_b32 v[3:4], v9, off offset:120
	s_waitcnt lgkmcnt(0)
	global_store_b32 v[3:4], v10, off offset:160
	s_and_b32 exec_lo, exec_lo, vcc_lo
	s_cbranch_execz .LBB0_21
; %bb.20:
	ds_load_b32 v0, v13 offset:164
	s_waitcnt lgkmcnt(0)
	global_store_b32 v[1:2], v0, off offset:200
.LBB0_21:
	s_nop 0
	s_sendmsg sendmsg(MSG_DEALLOC_VGPRS)
	s_endpgm
	.section	.rodata,"a",@progbits
	.p2align	6, 0x0
	.amdhsa_kernel fft_rtc_back_len50_factors_10_5_wgs_250_tpt_10_halfLds_half_ip_CI_unitstride_sbrr_R2C_dirReg
		.amdhsa_group_segment_fixed_size 0
		.amdhsa_private_segment_fixed_size 0
		.amdhsa_kernarg_size 88
		.amdhsa_user_sgpr_count 15
		.amdhsa_user_sgpr_dispatch_ptr 0
		.amdhsa_user_sgpr_queue_ptr 0
		.amdhsa_user_sgpr_kernarg_segment_ptr 1
		.amdhsa_user_sgpr_dispatch_id 0
		.amdhsa_user_sgpr_private_segment_size 0
		.amdhsa_wavefront_size32 1
		.amdhsa_uses_dynamic_stack 0
		.amdhsa_enable_private_segment 0
		.amdhsa_system_sgpr_workgroup_id_x 1
		.amdhsa_system_sgpr_workgroup_id_y 0
		.amdhsa_system_sgpr_workgroup_id_z 0
		.amdhsa_system_sgpr_workgroup_info 0
		.amdhsa_system_vgpr_workitem_id 0
		.amdhsa_next_free_vgpr 51
		.amdhsa_next_free_sgpr 21
		.amdhsa_reserve_vcc 1
		.amdhsa_float_round_mode_32 0
		.amdhsa_float_round_mode_16_64 0
		.amdhsa_float_denorm_mode_32 3
		.amdhsa_float_denorm_mode_16_64 3
		.amdhsa_dx10_clamp 1
		.amdhsa_ieee_mode 1
		.amdhsa_fp16_overflow 0
		.amdhsa_workgroup_processor_mode 1
		.amdhsa_memory_ordered 1
		.amdhsa_forward_progress 0
		.amdhsa_shared_vgpr_count 0
		.amdhsa_exception_fp_ieee_invalid_op 0
		.amdhsa_exception_fp_denorm_src 0
		.amdhsa_exception_fp_ieee_div_zero 0
		.amdhsa_exception_fp_ieee_overflow 0
		.amdhsa_exception_fp_ieee_underflow 0
		.amdhsa_exception_fp_ieee_inexact 0
		.amdhsa_exception_int_div_zero 0
	.end_amdhsa_kernel
	.text
.Lfunc_end0:
	.size	fft_rtc_back_len50_factors_10_5_wgs_250_tpt_10_halfLds_half_ip_CI_unitstride_sbrr_R2C_dirReg, .Lfunc_end0-fft_rtc_back_len50_factors_10_5_wgs_250_tpt_10_halfLds_half_ip_CI_unitstride_sbrr_R2C_dirReg
                                        ; -- End function
	.section	.AMDGPU.csdata,"",@progbits
; Kernel info:
; codeLenInByte = 4300
; NumSgprs: 23
; NumVgprs: 51
; ScratchSize: 0
; MemoryBound: 0
; FloatMode: 240
; IeeeMode: 1
; LDSByteSize: 0 bytes/workgroup (compile time only)
; SGPRBlocks: 2
; VGPRBlocks: 6
; NumSGPRsForWavesPerEU: 23
; NumVGPRsForWavesPerEU: 51
; Occupancy: 16
; WaveLimiterHint : 1
; COMPUTE_PGM_RSRC2:SCRATCH_EN: 0
; COMPUTE_PGM_RSRC2:USER_SGPR: 15
; COMPUTE_PGM_RSRC2:TRAP_HANDLER: 0
; COMPUTE_PGM_RSRC2:TGID_X_EN: 1
; COMPUTE_PGM_RSRC2:TGID_Y_EN: 0
; COMPUTE_PGM_RSRC2:TGID_Z_EN: 0
; COMPUTE_PGM_RSRC2:TIDIG_COMP_CNT: 0
	.text
	.p2alignl 7, 3214868480
	.fill 96, 4, 3214868480
	.type	__hip_cuid_9ff2e5a6c80e4f8,@object ; @__hip_cuid_9ff2e5a6c80e4f8
	.section	.bss,"aw",@nobits
	.globl	__hip_cuid_9ff2e5a6c80e4f8
__hip_cuid_9ff2e5a6c80e4f8:
	.byte	0                               ; 0x0
	.size	__hip_cuid_9ff2e5a6c80e4f8, 1

	.ident	"AMD clang version 19.0.0git (https://github.com/RadeonOpenCompute/llvm-project roc-6.4.0 25133 c7fe45cf4b819c5991fe208aaa96edf142730f1d)"
	.section	".note.GNU-stack","",@progbits
	.addrsig
	.addrsig_sym __hip_cuid_9ff2e5a6c80e4f8
	.amdgpu_metadata
---
amdhsa.kernels:
  - .args:
      - .actual_access:  read_only
        .address_space:  global
        .offset:         0
        .size:           8
        .value_kind:     global_buffer
      - .offset:         8
        .size:           8
        .value_kind:     by_value
      - .actual_access:  read_only
        .address_space:  global
        .offset:         16
        .size:           8
        .value_kind:     global_buffer
      - .actual_access:  read_only
        .address_space:  global
        .offset:         24
        .size:           8
        .value_kind:     global_buffer
      - .offset:         32
        .size:           8
        .value_kind:     by_value
      - .actual_access:  read_only
        .address_space:  global
        .offset:         40
        .size:           8
        .value_kind:     global_buffer
      - .actual_access:  read_only
        .address_space:  global
        .offset:         48
        .size:           8
        .value_kind:     global_buffer
      - .offset:         56
        .size:           4
        .value_kind:     by_value
      - .actual_access:  read_only
        .address_space:  global
        .offset:         64
        .size:           8
        .value_kind:     global_buffer
      - .actual_access:  read_only
        .address_space:  global
        .offset:         72
        .size:           8
        .value_kind:     global_buffer
      - .address_space:  global
        .offset:         80
        .size:           8
        .value_kind:     global_buffer
    .group_segment_fixed_size: 0
    .kernarg_segment_align: 8
    .kernarg_segment_size: 88
    .language:       OpenCL C
    .language_version:
      - 2
      - 0
    .max_flat_workgroup_size: 250
    .name:           fft_rtc_back_len50_factors_10_5_wgs_250_tpt_10_halfLds_half_ip_CI_unitstride_sbrr_R2C_dirReg
    .private_segment_fixed_size: 0
    .sgpr_count:     23
    .sgpr_spill_count: 0
    .symbol:         fft_rtc_back_len50_factors_10_5_wgs_250_tpt_10_halfLds_half_ip_CI_unitstride_sbrr_R2C_dirReg.kd
    .uniform_work_group_size: 1
    .uses_dynamic_stack: false
    .vgpr_count:     51
    .vgpr_spill_count: 0
    .wavefront_size: 32
    .workgroup_processor_mode: 1
amdhsa.target:   amdgcn-amd-amdhsa--gfx1100
amdhsa.version:
  - 1
  - 2
...

	.end_amdgpu_metadata
